;; amdgpu-corpus repo=ROCm/rocFFT kind=compiled arch=gfx1100 opt=O3
	.text
	.amdgcn_target "amdgcn-amd-amdhsa--gfx1100"
	.amdhsa_code_object_version 6
	.protected	fft_rtc_back_len1024_factors_8_8_4_4_wgs_128_tpt_128_halfLds_dp_ip_CI_unitstride_sbrr_R2C_dirReg ; -- Begin function fft_rtc_back_len1024_factors_8_8_4_4_wgs_128_tpt_128_halfLds_dp_ip_CI_unitstride_sbrr_R2C_dirReg
	.globl	fft_rtc_back_len1024_factors_8_8_4_4_wgs_128_tpt_128_halfLds_dp_ip_CI_unitstride_sbrr_R2C_dirReg
	.p2align	8
	.type	fft_rtc_back_len1024_factors_8_8_4_4_wgs_128_tpt_128_halfLds_dp_ip_CI_unitstride_sbrr_R2C_dirReg,@function
fft_rtc_back_len1024_factors_8_8_4_4_wgs_128_tpt_128_halfLds_dp_ip_CI_unitstride_sbrr_R2C_dirReg: ; @fft_rtc_back_len1024_factors_8_8_4_4_wgs_128_tpt_128_halfLds_dp_ip_CI_unitstride_sbrr_R2C_dirReg
; %bb.0:
	s_clause 0x2
	s_load_b128 s[4:7], s[0:1], 0x0
	s_load_b64 s[8:9], s[0:1], 0x50
	s_load_b64 s[10:11], s[0:1], 0x18
	v_mov_b32_e32 v1, 0
	v_mov_b32_e32 v3, 0
	v_dual_mov_b32 v4, 0 :: v_dual_mov_b32 v5, s15
	s_delay_alu instid0(VALU_DEP_3) | instskip(SKIP_2) | instid1(VALU_DEP_1)
	v_mov_b32_e32 v6, v1
	s_waitcnt lgkmcnt(0)
	v_cmp_lt_u64_e64 s2, s[6:7], 2
	s_and_b32 vcc_lo, exec_lo, s2
	s_cbranch_vccnz .LBB0_8
; %bb.1:
	s_load_b64 s[2:3], s[0:1], 0x10
	v_mov_b32_e32 v3, 0
	s_add_u32 s12, s10, 8
	v_mov_b32_e32 v4, 0
	s_addc_u32 s13, s11, 0
	s_mov_b64 s[16:17], 1
	s_waitcnt lgkmcnt(0)
	s_add_u32 s14, s2, 8
	s_addc_u32 s15, s3, 0
.LBB0_2:                                ; =>This Inner Loop Header: Depth=1
	s_load_b64 s[18:19], s[14:15], 0x0
                                        ; implicit-def: $vgpr11_vgpr12
	s_mov_b32 s2, exec_lo
	s_waitcnt lgkmcnt(0)
	v_or_b32_e32 v2, s19, v6
	s_delay_alu instid0(VALU_DEP_1)
	v_cmpx_ne_u64_e32 0, v[1:2]
	s_xor_b32 s3, exec_lo, s2
	s_cbranch_execz .LBB0_4
; %bb.3:                                ;   in Loop: Header=BB0_2 Depth=1
	v_cvt_f32_u32_e32 v2, s18
	v_cvt_f32_u32_e32 v7, s19
	s_sub_u32 s2, 0, s18
	s_subb_u32 s20, 0, s19
	s_delay_alu instid0(VALU_DEP_1) | instskip(NEXT) | instid1(VALU_DEP_1)
	v_fmac_f32_e32 v2, 0x4f800000, v7
	v_rcp_f32_e32 v2, v2
	s_waitcnt_depctr 0xfff
	v_mul_f32_e32 v2, 0x5f7ffffc, v2
	s_delay_alu instid0(VALU_DEP_1) | instskip(NEXT) | instid1(VALU_DEP_1)
	v_mul_f32_e32 v7, 0x2f800000, v2
	v_trunc_f32_e32 v7, v7
	s_delay_alu instid0(VALU_DEP_1) | instskip(SKIP_1) | instid1(VALU_DEP_2)
	v_fmac_f32_e32 v2, 0xcf800000, v7
	v_cvt_u32_f32_e32 v7, v7
	v_cvt_u32_f32_e32 v2, v2
	s_delay_alu instid0(VALU_DEP_2) | instskip(NEXT) | instid1(VALU_DEP_2)
	v_mul_lo_u32 v8, s2, v7
	v_mul_hi_u32 v9, s2, v2
	v_mul_lo_u32 v10, s20, v2
	s_delay_alu instid0(VALU_DEP_2) | instskip(SKIP_1) | instid1(VALU_DEP_2)
	v_add_nc_u32_e32 v8, v9, v8
	v_mul_lo_u32 v9, s2, v2
	v_add_nc_u32_e32 v8, v8, v10
	s_delay_alu instid0(VALU_DEP_2) | instskip(NEXT) | instid1(VALU_DEP_2)
	v_mul_hi_u32 v10, v2, v9
	v_mul_lo_u32 v11, v2, v8
	v_mul_hi_u32 v12, v2, v8
	v_mul_hi_u32 v13, v7, v9
	v_mul_lo_u32 v9, v7, v9
	v_mul_hi_u32 v14, v7, v8
	v_mul_lo_u32 v8, v7, v8
	v_add_co_u32 v10, vcc_lo, v10, v11
	v_add_co_ci_u32_e32 v11, vcc_lo, 0, v12, vcc_lo
	s_delay_alu instid0(VALU_DEP_2) | instskip(NEXT) | instid1(VALU_DEP_2)
	v_add_co_u32 v9, vcc_lo, v10, v9
	v_add_co_ci_u32_e32 v9, vcc_lo, v11, v13, vcc_lo
	v_add_co_ci_u32_e32 v10, vcc_lo, 0, v14, vcc_lo
	s_delay_alu instid0(VALU_DEP_2) | instskip(NEXT) | instid1(VALU_DEP_2)
	v_add_co_u32 v8, vcc_lo, v9, v8
	v_add_co_ci_u32_e32 v9, vcc_lo, 0, v10, vcc_lo
	s_delay_alu instid0(VALU_DEP_2) | instskip(NEXT) | instid1(VALU_DEP_2)
	v_add_co_u32 v2, vcc_lo, v2, v8
	v_add_co_ci_u32_e32 v7, vcc_lo, v7, v9, vcc_lo
	s_delay_alu instid0(VALU_DEP_2) | instskip(SKIP_1) | instid1(VALU_DEP_3)
	v_mul_hi_u32 v8, s2, v2
	v_mul_lo_u32 v10, s20, v2
	v_mul_lo_u32 v9, s2, v7
	s_delay_alu instid0(VALU_DEP_1) | instskip(SKIP_1) | instid1(VALU_DEP_2)
	v_add_nc_u32_e32 v8, v8, v9
	v_mul_lo_u32 v9, s2, v2
	v_add_nc_u32_e32 v8, v8, v10
	s_delay_alu instid0(VALU_DEP_2) | instskip(NEXT) | instid1(VALU_DEP_2)
	v_mul_hi_u32 v10, v2, v9
	v_mul_lo_u32 v11, v2, v8
	v_mul_hi_u32 v12, v2, v8
	v_mul_hi_u32 v13, v7, v9
	v_mul_lo_u32 v9, v7, v9
	v_mul_hi_u32 v14, v7, v8
	v_mul_lo_u32 v8, v7, v8
	v_add_co_u32 v10, vcc_lo, v10, v11
	v_add_co_ci_u32_e32 v11, vcc_lo, 0, v12, vcc_lo
	s_delay_alu instid0(VALU_DEP_2) | instskip(NEXT) | instid1(VALU_DEP_2)
	v_add_co_u32 v9, vcc_lo, v10, v9
	v_add_co_ci_u32_e32 v9, vcc_lo, v11, v13, vcc_lo
	v_add_co_ci_u32_e32 v10, vcc_lo, 0, v14, vcc_lo
	s_delay_alu instid0(VALU_DEP_2) | instskip(NEXT) | instid1(VALU_DEP_2)
	v_add_co_u32 v8, vcc_lo, v9, v8
	v_add_co_ci_u32_e32 v9, vcc_lo, 0, v10, vcc_lo
	s_delay_alu instid0(VALU_DEP_2) | instskip(NEXT) | instid1(VALU_DEP_2)
	v_add_co_u32 v2, vcc_lo, v2, v8
	v_add_co_ci_u32_e32 v13, vcc_lo, v7, v9, vcc_lo
	s_delay_alu instid0(VALU_DEP_2) | instskip(SKIP_1) | instid1(VALU_DEP_3)
	v_mul_hi_u32 v14, v5, v2
	v_mad_u64_u32 v[9:10], null, v6, v2, 0
	v_mad_u64_u32 v[7:8], null, v5, v13, 0
	;; [unrolled: 1-line block ×3, first 2 shown]
	s_delay_alu instid0(VALU_DEP_2) | instskip(NEXT) | instid1(VALU_DEP_3)
	v_add_co_u32 v2, vcc_lo, v14, v7
	v_add_co_ci_u32_e32 v7, vcc_lo, 0, v8, vcc_lo
	s_delay_alu instid0(VALU_DEP_2) | instskip(NEXT) | instid1(VALU_DEP_2)
	v_add_co_u32 v2, vcc_lo, v2, v9
	v_add_co_ci_u32_e32 v2, vcc_lo, v7, v10, vcc_lo
	v_add_co_ci_u32_e32 v7, vcc_lo, 0, v12, vcc_lo
	s_delay_alu instid0(VALU_DEP_2) | instskip(NEXT) | instid1(VALU_DEP_2)
	v_add_co_u32 v2, vcc_lo, v2, v11
	v_add_co_ci_u32_e32 v9, vcc_lo, 0, v7, vcc_lo
	s_delay_alu instid0(VALU_DEP_2) | instskip(SKIP_1) | instid1(VALU_DEP_3)
	v_mul_lo_u32 v10, s19, v2
	v_mad_u64_u32 v[7:8], null, s18, v2, 0
	v_mul_lo_u32 v11, s18, v9
	s_delay_alu instid0(VALU_DEP_2) | instskip(NEXT) | instid1(VALU_DEP_2)
	v_sub_co_u32 v7, vcc_lo, v5, v7
	v_add3_u32 v8, v8, v11, v10
	s_delay_alu instid0(VALU_DEP_1) | instskip(NEXT) | instid1(VALU_DEP_1)
	v_sub_nc_u32_e32 v10, v6, v8
	v_subrev_co_ci_u32_e64 v10, s2, s19, v10, vcc_lo
	v_add_co_u32 v11, s2, v2, 2
	s_delay_alu instid0(VALU_DEP_1) | instskip(SKIP_3) | instid1(VALU_DEP_3)
	v_add_co_ci_u32_e64 v12, s2, 0, v9, s2
	v_sub_co_u32 v13, s2, v7, s18
	v_sub_co_ci_u32_e32 v8, vcc_lo, v6, v8, vcc_lo
	v_subrev_co_ci_u32_e64 v10, s2, 0, v10, s2
	v_cmp_le_u32_e32 vcc_lo, s18, v13
	s_delay_alu instid0(VALU_DEP_3) | instskip(SKIP_1) | instid1(VALU_DEP_4)
	v_cmp_eq_u32_e64 s2, s19, v8
	v_cndmask_b32_e64 v13, 0, -1, vcc_lo
	v_cmp_le_u32_e32 vcc_lo, s19, v10
	v_cndmask_b32_e64 v14, 0, -1, vcc_lo
	v_cmp_le_u32_e32 vcc_lo, s18, v7
	;; [unrolled: 2-line block ×3, first 2 shown]
	v_cndmask_b32_e64 v15, 0, -1, vcc_lo
	v_cmp_eq_u32_e32 vcc_lo, s19, v10
	s_delay_alu instid0(VALU_DEP_2) | instskip(SKIP_3) | instid1(VALU_DEP_3)
	v_cndmask_b32_e64 v7, v15, v7, s2
	v_cndmask_b32_e32 v10, v14, v13, vcc_lo
	v_add_co_u32 v13, vcc_lo, v2, 1
	v_add_co_ci_u32_e32 v14, vcc_lo, 0, v9, vcc_lo
	v_cmp_ne_u32_e32 vcc_lo, 0, v10
	s_delay_alu instid0(VALU_DEP_2) | instskip(NEXT) | instid1(VALU_DEP_4)
	v_cndmask_b32_e32 v8, v14, v12, vcc_lo
	v_cndmask_b32_e32 v10, v13, v11, vcc_lo
	v_cmp_ne_u32_e32 vcc_lo, 0, v7
	s_delay_alu instid0(VALU_DEP_2)
	v_dual_cndmask_b32 v11, v2, v10 :: v_dual_cndmask_b32 v12, v9, v8
.LBB0_4:                                ;   in Loop: Header=BB0_2 Depth=1
	s_and_not1_saveexec_b32 s2, s3
	s_cbranch_execz .LBB0_6
; %bb.5:                                ;   in Loop: Header=BB0_2 Depth=1
	v_cvt_f32_u32_e32 v2, s18
	s_sub_i32 s3, 0, s18
	v_mov_b32_e32 v12, v1
	s_delay_alu instid0(VALU_DEP_2) | instskip(SKIP_2) | instid1(VALU_DEP_1)
	v_rcp_iflag_f32_e32 v2, v2
	s_waitcnt_depctr 0xfff
	v_mul_f32_e32 v2, 0x4f7ffffe, v2
	v_cvt_u32_f32_e32 v2, v2
	s_delay_alu instid0(VALU_DEP_1) | instskip(NEXT) | instid1(VALU_DEP_1)
	v_mul_lo_u32 v7, s3, v2
	v_mul_hi_u32 v7, v2, v7
	s_delay_alu instid0(VALU_DEP_1) | instskip(NEXT) | instid1(VALU_DEP_1)
	v_add_nc_u32_e32 v2, v2, v7
	v_mul_hi_u32 v2, v5, v2
	s_delay_alu instid0(VALU_DEP_1) | instskip(SKIP_1) | instid1(VALU_DEP_2)
	v_mul_lo_u32 v7, v2, s18
	v_add_nc_u32_e32 v8, 1, v2
	v_sub_nc_u32_e32 v7, v5, v7
	s_delay_alu instid0(VALU_DEP_1) | instskip(SKIP_1) | instid1(VALU_DEP_2)
	v_subrev_nc_u32_e32 v9, s18, v7
	v_cmp_le_u32_e32 vcc_lo, s18, v7
	v_dual_cndmask_b32 v7, v7, v9 :: v_dual_cndmask_b32 v2, v2, v8
	s_delay_alu instid0(VALU_DEP_1) | instskip(NEXT) | instid1(VALU_DEP_2)
	v_cmp_le_u32_e32 vcc_lo, s18, v7
	v_add_nc_u32_e32 v8, 1, v2
	s_delay_alu instid0(VALU_DEP_1)
	v_cndmask_b32_e32 v11, v2, v8, vcc_lo
.LBB0_6:                                ;   in Loop: Header=BB0_2 Depth=1
	s_or_b32 exec_lo, exec_lo, s2
	s_load_b64 s[2:3], s[12:13], 0x0
	v_mul_lo_u32 v2, v12, s18
	s_delay_alu instid0(VALU_DEP_2)
	v_mul_lo_u32 v9, v11, s19
	v_mad_u64_u32 v[7:8], null, v11, s18, 0
	s_add_u32 s16, s16, 1
	s_addc_u32 s17, s17, 0
	s_add_u32 s12, s12, 8
	s_addc_u32 s13, s13, 0
	;; [unrolled: 2-line block ×3, first 2 shown]
	s_delay_alu instid0(VALU_DEP_1) | instskip(SKIP_1) | instid1(VALU_DEP_2)
	v_add3_u32 v2, v8, v9, v2
	v_sub_co_u32 v7, vcc_lo, v5, v7
	v_sub_co_ci_u32_e32 v2, vcc_lo, v6, v2, vcc_lo
	s_waitcnt lgkmcnt(0)
	s_delay_alu instid0(VALU_DEP_2) | instskip(NEXT) | instid1(VALU_DEP_2)
	v_mul_lo_u32 v8, s3, v7
	v_mul_lo_u32 v2, s2, v2
	v_mad_u64_u32 v[5:6], null, s2, v7, v[3:4]
	v_cmp_ge_u64_e64 s2, s[16:17], s[6:7]
	s_delay_alu instid0(VALU_DEP_1) | instskip(NEXT) | instid1(VALU_DEP_2)
	s_and_b32 vcc_lo, exec_lo, s2
	v_add3_u32 v4, v8, v6, v2
	s_delay_alu instid0(VALU_DEP_3)
	v_mov_b32_e32 v3, v5
	s_cbranch_vccnz .LBB0_9
; %bb.7:                                ;   in Loop: Header=BB0_2 Depth=1
	v_dual_mov_b32 v5, v11 :: v_dual_mov_b32 v6, v12
	s_branch .LBB0_2
.LBB0_8:
	v_dual_mov_b32 v12, v6 :: v_dual_mov_b32 v11, v5
.LBB0_9:
	s_lshl_b64 s[2:3], s[6:7], 3
	v_or_b32_e32 v8, 0x80, v0
	s_add_u32 s2, s10, s2
	s_addc_u32 s3, s11, s3
	v_or_b32_e32 v10, 0x100, v0
	s_load_b64 s[2:3], s[2:3], 0x0
	s_load_b64 s[0:1], s[0:1], 0x20
	v_or_b32_e32 v13, 0x200, v0
	v_or_b32_e32 v9, 0x300, v0
	;; [unrolled: 1-line block ×3, first 2 shown]
	s_waitcnt lgkmcnt(0)
	v_mul_lo_u32 v5, s2, v12
	v_mul_lo_u32 v6, s3, v11
	v_mad_u64_u32 v[1:2], null, s2, v11, v[3:4]
	v_cmp_gt_u64_e32 vcc_lo, s[0:1], v[11:12]
	v_cmp_le_u64_e64 s0, s[0:1], v[11:12]
	v_or_b32_e32 v4, 0x280, v0
	v_or_b32_e32 v3, 0x380, v0
	v_add3_u32 v2, v6, v2, v5
	s_delay_alu instid0(VALU_DEP_4) | instskip(NEXT) | instid1(SALU_CYCLE_1)
	s_and_saveexec_b32 s1, s0
	s_xor_b32 s0, exec_lo, s1
; %bb.10:
	v_or_b32_e32 v8, 0x80, v0
	v_or_b32_e32 v10, 0x100, v0
	;; [unrolled: 1-line block ×7, first 2 shown]
; %bb.11:
	s_or_saveexec_b32 s1, s0
	v_lshlrev_b64 v[5:6], 4, v[1:2]
	v_lshlrev_b32_e32 v16, 4, v0
	s_xor_b32 exec_lo, exec_lo, s1
	s_cbranch_execz .LBB0_13
; %bb.12:
	s_delay_alu instid0(VALU_DEP_2) | instskip(NEXT) | instid1(VALU_DEP_1)
	v_add_co_u32 v25, s0, s8, v5
	v_add_co_ci_u32_e64 v26, s0, s9, v6, s0
	v_lshlrev_b32_e32 v11, 4, v10
	s_delay_alu instid0(VALU_DEP_3) | instskip(NEXT) | instid1(VALU_DEP_1)
	v_add_co_u32 v1, s0, v25, v16
	v_add_co_ci_u32_e64 v2, s0, 0, v26, s0
	v_lshlrev_b32_e32 v12, 4, v7
	v_lshlrev_b32_e32 v14, 4, v13
	;; [unrolled: 1-line block ×3, first 2 shown]
	s_clause 0x1
	global_load_b128 v[17:20], v[1:2], off
	global_load_b128 v[21:24], v[1:2], off offset:2048
	v_add_co_u32 v1, s0, v25, v11
	s_delay_alu instid0(VALU_DEP_1) | instskip(SKIP_1) | instid1(VALU_DEP_1)
	v_add_co_ci_u32_e64 v2, s0, 0, v26, s0
	v_add_co_u32 v11, s0, v25, v12
	v_add_co_ci_u32_e64 v12, s0, 0, v26, s0
	v_add_co_u32 v14, s0, v25, v14
	v_lshlrev_b32_e32 v28, 4, v9
	v_add_co_ci_u32_e64 v15, s0, 0, v26, s0
	v_add_co_u32 v37, s0, v25, v27
	v_lshlrev_b32_e32 v49, 4, v3
	v_add_co_ci_u32_e64 v38, s0, 0, v26, s0
	v_add_co_u32 v41, s0, v25, v28
	s_delay_alu instid0(VALU_DEP_1) | instskip(NEXT) | instid1(VALU_DEP_4)
	v_add_co_ci_u32_e64 v42, s0, 0, v26, s0
	v_add_co_u32 v45, s0, v25, v49
	s_delay_alu instid0(VALU_DEP_1)
	v_add_co_ci_u32_e64 v46, s0, 0, v26, s0
	s_clause 0x5
	global_load_b128 v[25:28], v[1:2], off
	global_load_b128 v[29:32], v[11:12], off
	;; [unrolled: 1-line block ×6, first 2 shown]
	v_add_nc_u32_e32 v1, 0, v16
	v_add_nc_u32_e32 v2, 0, v49
	s_waitcnt vmcnt(7)
	ds_store_b128 v1, v[17:20]
	s_waitcnt vmcnt(6)
	ds_store_b128 v1, v[21:24] offset:2048
	s_waitcnt vmcnt(5)
	ds_store_b128 v1, v[25:28] offset:4096
	s_waitcnt vmcnt(4)
	ds_store_b128 v1, v[29:32] offset:6144
	s_waitcnt vmcnt(3)
	ds_store_b128 v1, v[33:36] offset:8192
	s_waitcnt vmcnt(2)
	ds_store_b128 v1, v[37:40] offset:10240
	s_waitcnt vmcnt(1)
	ds_store_b128 v1, v[41:44] offset:12288
	s_waitcnt vmcnt(0)
	ds_store_b128 v2, v[45:48]
.LBB0_13:
	s_or_b32 exec_lo, exec_lo, s1
	s_delay_alu instid0(VALU_DEP_1)
	v_add_nc_u32_e32 v17, 0, v16
	s_waitcnt lgkmcnt(0)
	s_barrier
	buffer_gl0_inv
	s_mov_b32 s0, 0x667f3bcd
	ds_load_b128 v[18:21], v17 offset:8192
	ds_load_b128 v[22:25], v17
	ds_load_b128 v[26:29], v17 offset:4096
	ds_load_b128 v[30:33], v17 offset:12288
	;; [unrolled: 1-line block ×6, first 2 shown]
	s_mov_b32 s1, 0xbfe6a09e
	s_mov_b32 s3, 0x3fe6a09e
	;; [unrolled: 1-line block ×3, first 2 shown]
	v_and_b32_e32 v79, 7, v0
	s_waitcnt lgkmcnt(0)
	s_barrier
	buffer_gl0_inv
	v_lshl_add_u32 v4, v4, 4, 0
	v_lshl_add_u32 v3, v3, 4, 0
	v_add_f64 v[1:2], v[22:23], -v[18:19]
	v_add_f64 v[11:12], v[24:25], -v[20:21]
	;; [unrolled: 1-line block ×8, first 2 shown]
	v_fma_f64 v[22:23], v[22:23], 2.0, -v[1:2]
	v_fma_f64 v[24:25], v[24:25], 2.0, -v[11:12]
	;; [unrolled: 1-line block ×6, first 2 shown]
	v_add_f64 v[40:41], v[1:2], v[18:19]
	v_fma_f64 v[18:19], v[42:43], 2.0, -v[32:33]
	v_fma_f64 v[42:43], v[44:45], 2.0, -v[38:39]
	v_add_f64 v[14:15], v[11:12], -v[14:15]
	v_add_f64 v[38:39], v[20:21], v[38:39]
	v_add_f64 v[32:33], v[30:31], -v[32:33]
	v_add_f64 v[44:45], v[22:23], -v[26:27]
	;; [unrolled: 1-line block ×3, first 2 shown]
	v_fma_f64 v[1:2], v[1:2], 2.0, -v[40:41]
	v_add_f64 v[26:27], v[34:35], -v[18:19]
	v_add_f64 v[18:19], v[36:37], -v[42:43]
	v_fma_f64 v[11:12], v[11:12], 2.0, -v[14:15]
	v_fma_f64 v[42:43], v[20:21], 2.0, -v[38:39]
	;; [unrolled: 1-line block ×3, first 2 shown]
	v_fma_f64 v[28:29], v[38:39], s[2:3], v[40:41]
	v_fma_f64 v[48:49], v[32:33], s[2:3], v[14:15]
	v_fma_f64 v[50:51], v[22:23], 2.0, -v[44:45]
	v_fma_f64 v[52:53], v[24:25], 2.0, -v[46:47]
	;; [unrolled: 1-line block ×4, first 2 shown]
	v_add_f64 v[18:19], v[44:45], v[18:19]
	v_fma_f64 v[54:55], v[42:43], s[0:1], v[1:2]
	v_fma_f64 v[56:57], v[30:31], s[0:1], v[11:12]
	v_add_f64 v[20:21], v[46:47], -v[26:27]
	v_fma_f64 v[22:23], v[32:33], s[2:3], v[28:29]
	v_fma_f64 v[24:25], v[38:39], s[0:1], v[48:49]
	v_add_f64 v[26:27], v[50:51], -v[34:35]
	v_add_f64 v[28:29], v[52:53], -v[36:37]
	v_fma_f64 v[34:35], v[44:45], 2.0, -v[18:19]
	v_fma_f64 v[30:31], v[30:31], s[2:3], v[54:55]
	v_fma_f64 v[32:33], v[42:43], s[0:1], v[56:57]
	v_fma_f64 v[36:37], v[46:47], 2.0, -v[20:21]
	v_fma_f64 v[38:39], v[40:41], 2.0, -v[22:23]
	v_fma_f64 v[40:41], v[14:15], 2.0, -v[24:25]
	v_fma_f64 v[42:43], v[50:51], 2.0, -v[26:27]
	v_fma_f64 v[44:45], v[52:53], 2.0, -v[28:29]
	v_fma_f64 v[46:47], v[1:2], 2.0, -v[30:31]
	v_fma_f64 v[48:49], v[11:12], 2.0, -v[32:33]
	v_mul_u32_u24_e32 v1, 7, v79
	v_mad_u32_u24 v2, 0x70, v0, v17
	ds_store_b128 v2, v[18:21] offset:96
	ds_store_b128 v2, v[22:25] offset:112
	;; [unrolled: 1-line block ×6, first 2 shown]
	ds_store_b128 v2, v[42:45]
	ds_store_b128 v2, v[46:49] offset:16
	v_lshlrev_b32_e32 v1, 4, v1
	s_waitcnt lgkmcnt(0)
	s_barrier
	buffer_gl0_inv
	s_clause 0x6
	global_load_b128 v[19:22], v1, s[4:5]
	global_load_b128 v[23:26], v1, s[4:5] offset:16
	global_load_b128 v[27:30], v1, s[4:5] offset:48
	;; [unrolled: 1-line block ×6, first 2 shown]
	v_lshl_add_u32 v18, v8, 4, 0
	ds_load_b128 v[47:50], v18
	ds_load_b128 v[51:54], v17 offset:14336
	ds_load_b128 v[55:58], v17 offset:4096
	;; [unrolled: 1-line block ×6, first 2 shown]
	s_waitcnt vmcnt(6) lgkmcnt(6)
	v_mul_f64 v[1:2], v[49:50], v[21:22]
	v_mul_f64 v[11:12], v[47:48], v[21:22]
	s_waitcnt vmcnt(5) lgkmcnt(4)
	v_mul_f64 v[14:15], v[57:58], v[25:26]
	v_mul_f64 v[21:22], v[55:56], v[25:26]
	;; [unrolled: 3-line block ×5, first 2 shown]
	v_fma_f64 v[1:2], v[47:48], v[19:20], v[1:2]
	v_fma_f64 v[11:12], v[49:50], v[19:20], -v[11:12]
	s_waitcnt vmcnt(1) lgkmcnt(0)
	v_mul_f64 v[19:20], v[73:74], v[41:42]
	v_mul_f64 v[41:42], v[71:72], v[41:42]
	s_waitcnt vmcnt(0)
	v_mul_f64 v[47:48], v[53:54], v[45:46]
	v_mul_f64 v[45:46], v[51:52], v[45:46]
	v_fma_f64 v[14:15], v[55:56], v[23:24], v[14:15]
	v_fma_f64 v[23:24], v[57:58], v[23:24], -v[21:22]
	v_fma_f64 v[25:26], v[59:60], v[27:28], v[25:26]
	v_fma_f64 v[27:28], v[61:62], v[27:28], -v[29:30]
	;; [unrolled: 2-line block ×4, first 2 shown]
	v_and_b32_e32 v67, 63, v0
	v_fma_f64 v[33:34], v[71:72], v[39:40], v[19:20]
	v_fma_f64 v[39:40], v[73:74], v[39:40], -v[41:42]
	v_fma_f64 v[41:42], v[51:52], v[43:44], v[47:48]
	v_fma_f64 v[43:44], v[53:54], v[43:44], -v[45:46]
	ds_load_b128 v[19:22], v17
	s_waitcnt lgkmcnt(0)
	s_barrier
	buffer_gl0_inv
	v_add_f64 v[29:30], v[14:15], -v[29:30]
	v_add_f64 v[35:36], v[23:24], -v[35:36]
	;; [unrolled: 1-line block ×8, first 2 shown]
	v_fma_f64 v[14:15], v[14:15], 2.0, -v[29:30]
	v_fma_f64 v[23:24], v[23:24], 2.0, -v[35:36]
	;; [unrolled: 1-line block ×6, first 2 shown]
	v_add_f64 v[45:46], v[25:26], v[35:36]
	v_add_f64 v[47:48], v[27:28], -v[29:30]
	v_fma_f64 v[29:30], v[33:34], 2.0, -v[41:42]
	v_fma_f64 v[33:34], v[39:40], 2.0, -v[43:44]
	v_add_f64 v[35:36], v[37:38], v[43:44]
	v_add_f64 v[39:40], v[31:32], -v[41:42]
	v_add_f64 v[14:15], v[19:20], -v[14:15]
	;; [unrolled: 1-line block ×3, first 2 shown]
	v_fma_f64 v[49:50], v[25:26], 2.0, -v[45:46]
	v_fma_f64 v[51:52], v[27:28], 2.0, -v[47:48]
	v_add_f64 v[23:24], v[1:2], -v[29:30]
	v_add_f64 v[25:26], v[11:12], -v[33:34]
	v_fma_f64 v[33:34], v[37:38], 2.0, -v[35:36]
	v_fma_f64 v[31:32], v[31:32], 2.0, -v[39:40]
	v_fma_f64 v[27:28], v[35:36], s[2:3], v[45:46]
	v_fma_f64 v[29:30], v[39:40], s[2:3], v[47:48]
	v_fma_f64 v[43:44], v[19:20], 2.0, -v[14:15]
	v_fma_f64 v[53:54], v[21:22], 2.0, -v[41:42]
	;; [unrolled: 1-line block ×4, first 2 shown]
	v_fma_f64 v[37:38], v[33:34], s[0:1], v[49:50]
	v_fma_f64 v[55:56], v[31:32], s[0:1], v[51:52]
	v_add_f64 v[19:20], v[14:15], v[25:26]
	v_add_f64 v[21:22], v[41:42], -v[23:24]
	v_fma_f64 v[23:24], v[39:40], s[2:3], v[27:28]
	v_fma_f64 v[25:26], v[35:36], s[0:1], v[29:30]
	v_add_f64 v[27:28], v[43:44], -v[1:2]
	v_add_f64 v[29:30], v[53:54], -v[11:12]
	v_fma_f64 v[31:32], v[31:32], s[2:3], v[37:38]
	v_fma_f64 v[33:34], v[33:34], s[0:1], v[55:56]
	v_fma_f64 v[35:36], v[14:15], 2.0, -v[19:20]
	v_fma_f64 v[37:38], v[41:42], 2.0, -v[21:22]
	v_fma_f64 v[39:40], v[45:46], 2.0, -v[23:24]
	v_fma_f64 v[41:42], v[47:48], 2.0, -v[25:26]
	v_lshlrev_b32_e32 v1, 3, v0
	v_mul_u32_u24_e32 v2, 3, v67
	s_add_u32 s2, s4, 0x3f80
	s_addc_u32 s3, s5, 0
	s_delay_alu instid0(VALU_DEP_2) | instskip(NEXT) | instid1(VALU_DEP_2)
	v_and_or_b32 v1, 0x3c0, v1, v79
	v_lshlrev_b32_e32 v2, 4, v2
	s_delay_alu instid0(VALU_DEP_2)
	v_lshl_add_u32 v1, v1, 4, 0
	v_fma_f64 v[43:44], v[43:44], 2.0, -v[27:28]
	v_fma_f64 v[45:46], v[53:54], 2.0, -v[29:30]
	;; [unrolled: 1-line block ×4, first 2 shown]
	ds_store_b128 v1, v[19:22] offset:768
	ds_store_b128 v1, v[23:26] offset:896
	ds_store_b128 v1, v[35:38] offset:256
	ds_store_b128 v1, v[39:42] offset:384
	ds_store_b128 v1, v[27:30] offset:512
	ds_store_b128 v1, v[31:34] offset:640
	ds_store_b128 v1, v[43:46]
	ds_store_b128 v1, v[47:50] offset:128
	s_waitcnt lgkmcnt(0)
	s_barrier
	buffer_gl0_inv
	s_clause 0x2
	global_load_b128 v[19:22], v2, s[4:5] offset:896
	global_load_b128 v[23:26], v2, s[4:5] offset:912
	global_load_b128 v[27:30], v2, s[4:5] offset:928
	ds_load_b128 v[31:34], v17 offset:4096
	ds_load_b128 v[35:38], v17 offset:8192
	;; [unrolled: 1-line block ×6, first 2 shown]
	s_waitcnt vmcnt(2) lgkmcnt(5)
	v_mul_f64 v[1:2], v[33:34], v[21:22]
	v_mul_f64 v[11:12], v[31:32], v[21:22]
	s_waitcnt vmcnt(1) lgkmcnt(4)
	v_mul_f64 v[14:15], v[37:38], v[25:26]
	v_mul_f64 v[55:56], v[35:36], v[25:26]
	;; [unrolled: 3-line block ×3, first 2 shown]
	s_waitcnt lgkmcnt(2)
	v_mul_f64 v[61:62], v[45:46], v[21:22]
	v_mul_f64 v[21:22], v[43:44], v[21:22]
	s_waitcnt lgkmcnt(1)
	v_mul_f64 v[63:64], v[49:50], v[25:26]
	v_mul_f64 v[25:26], v[47:48], v[25:26]
	;; [unrolled: 3-line block ×3, first 2 shown]
	v_fma_f64 v[1:2], v[31:32], v[19:20], v[1:2]
	v_fma_f64 v[11:12], v[33:34], v[19:20], -v[11:12]
	v_fma_f64 v[14:15], v[35:36], v[23:24], v[14:15]
	v_fma_f64 v[31:32], v[37:38], v[23:24], -v[55:56]
	;; [unrolled: 2-line block ×6, first 2 shown]
	ds_load_b128 v[19:22], v17
	ds_load_b128 v[23:26], v18
	s_waitcnt lgkmcnt(0)
	s_barrier
	buffer_gl0_inv
	v_add_f64 v[14:15], v[19:20], -v[14:15]
	v_add_f64 v[47:48], v[21:22], -v[31:32]
	;; [unrolled: 1-line block ×8, first 2 shown]
	v_fma_f64 v[43:44], v[19:20], 2.0, -v[14:15]
	v_fma_f64 v[45:46], v[21:22], 2.0, -v[47:48]
	;; [unrolled: 1-line block ×4, first 2 shown]
	v_add_f64 v[21:22], v[47:48], -v[29:30]
	v_add_f64 v[19:20], v[14:15], v[31:32]
	v_fma_f64 v[49:50], v[23:24], 2.0, -v[41:42]
	v_fma_f64 v[53:54], v[25:26], 2.0, -v[51:52]
	v_fma_f64 v[25:26], v[37:38], 2.0, -v[35:36]
	v_fma_f64 v[33:34], v[39:40], 2.0, -v[27:28]
	v_add_f64 v[23:24], v[41:42], v[27:28]
	v_add_f64 v[27:28], v[43:44], -v[1:2]
	v_mov_b32_e32 v2, 0
	v_add_f64 v[29:30], v[45:46], -v[11:12]
	v_fma_f64 v[37:38], v[47:48], 2.0, -v[21:22]
	v_lshlrev_b32_e32 v11, 2, v0
	v_mul_i32_i24_e32 v1, 3, v8
	v_add_f64 v[31:32], v[49:50], -v[25:26]
	v_add_f64 v[33:34], v[53:54], -v[33:34]
	;; [unrolled: 1-line block ×3, first 2 shown]
	v_fma_f64 v[35:36], v[14:15], 2.0, -v[19:20]
	v_fma_f64 v[39:40], v[41:42], 2.0, -v[23:24]
	v_lshlrev_b32_e32 v12, 2, v8
	v_mul_u32_u24_e32 v14, 3, v0
	v_and_or_b32 v11, 0x100, v11, v67
	v_lshlrev_b64 v[1:2], 4, v[1:2]
	s_delay_alu instid0(VALU_DEP_4) | instskip(NEXT) | instid1(VALU_DEP_4)
	v_and_or_b32 v12, 0x300, v12, v67
	v_lshlrev_b32_e32 v14, 4, v14
	s_delay_alu instid0(VALU_DEP_4) | instskip(NEXT) | instid1(VALU_DEP_4)
	v_lshl_add_u32 v11, v11, 4, 0
	v_add_co_u32 v1, s0, s4, v1
	s_delay_alu instid0(VALU_DEP_4)
	v_lshl_add_u32 v12, v12, 4, 0
	v_add_co_ci_u32_e64 v2, s0, s5, v2, s0
	v_cmp_ne_u32_e64 s0, 0, v0
	v_fma_f64 v[43:44], v[43:44], 2.0, -v[27:28]
	v_fma_f64 v[45:46], v[45:46], 2.0, -v[29:30]
	v_fma_f64 v[47:48], v[49:50], 2.0, -v[31:32]
	v_fma_f64 v[49:50], v[53:54], 2.0, -v[33:34]
	v_fma_f64 v[41:42], v[51:52], 2.0, -v[25:26]
	ds_store_b128 v11, v[27:30] offset:2048
	ds_store_b128 v11, v[19:22] offset:3072
	ds_store_b128 v11, v[43:46]
	ds_store_b128 v11, v[35:38] offset:1024
	ds_store_b128 v12, v[47:50]
	ds_store_b128 v12, v[39:42] offset:1024
	ds_store_b128 v12, v[31:34] offset:2048
	;; [unrolled: 1-line block ×3, first 2 shown]
	s_waitcnt lgkmcnt(0)
	s_barrier
	buffer_gl0_inv
	s_clause 0x5
	global_load_b128 v[19:22], v14, s[4:5] offset:3968
	global_load_b128 v[23:26], v14, s[4:5] offset:3984
	;; [unrolled: 1-line block ×3, first 2 shown]
	global_load_b128 v[31:34], v[1:2], off offset:3968
	global_load_b128 v[35:38], v[1:2], off offset:3984
	;; [unrolled: 1-line block ×3, first 2 shown]
	ds_load_b128 v[43:46], v17 offset:4096
	ds_load_b128 v[47:50], v17 offset:8192
	;; [unrolled: 1-line block ×6, first 2 shown]
	s_waitcnt vmcnt(4) lgkmcnt(4)
	v_mul_f64 v[14:15], v[49:50], v[25:26]
	s_waitcnt vmcnt(2) lgkmcnt(2)
	v_mul_f64 v[67:68], v[57:58], v[33:34]
	v_mul_f64 v[1:2], v[45:46], v[21:22]
	v_mul_f64 v[11:12], v[43:44], v[21:22]
	v_mul_f64 v[21:22], v[47:48], v[25:26]
	v_mul_f64 v[25:26], v[53:54], v[29:30]
	v_mul_f64 v[29:30], v[51:52], v[29:30]
	v_mul_f64 v[33:34], v[55:56], v[33:34]
	s_waitcnt vmcnt(1) lgkmcnt(1)
	v_mul_f64 v[69:70], v[61:62], v[37:38]
	v_mul_f64 v[37:38], v[59:60], v[37:38]
	s_waitcnt vmcnt(0) lgkmcnt(0)
	v_mul_f64 v[71:72], v[65:66], v[41:42]
	v_mul_f64 v[41:42], v[63:64], v[41:42]
	v_fma_f64 v[14:15], v[47:48], v[23:24], v[14:15]
	v_fma_f64 v[1:2], v[43:44], v[19:20], v[1:2]
	v_fma_f64 v[11:12], v[45:46], v[19:20], -v[11:12]
	v_fma_f64 v[43:44], v[49:50], v[23:24], -v[21:22]
	v_fma_f64 v[45:46], v[51:52], v[27:28], v[25:26]
	v_fma_f64 v[27:28], v[53:54], v[27:28], -v[29:30]
	v_fma_f64 v[29:30], v[55:56], v[31:32], v[67:68]
	;; [unrolled: 2-line block ×4, first 2 shown]
	v_fma_f64 v[39:40], v[65:66], v[39:40], -v[41:42]
	ds_load_b128 v[19:22], v17
	ds_load_b128 v[23:26], v18
	s_waitcnt lgkmcnt(0)
	s_barrier
	buffer_gl0_inv
	v_add_f64 v[14:15], v[19:20], -v[14:15]
	v_add_f64 v[47:48], v[21:22], -v[43:44]
	;; [unrolled: 1-line block ×8, first 2 shown]
	v_fma_f64 v[19:20], v[19:20], 2.0, -v[14:15]
	v_fma_f64 v[39:40], v[21:22], 2.0, -v[47:48]
	;; [unrolled: 1-line block ×4, first 2 shown]
	v_add_f64 v[21:22], v[14:15], v[27:28]
	v_fma_f64 v[49:50], v[23:24], 2.0, -v[45:46]
	v_fma_f64 v[51:52], v[25:26], 2.0, -v[53:54]
	;; [unrolled: 1-line block ×4, first 2 shown]
	v_add_f64 v[23:24], v[47:48], -v[41:42]
	v_add_f64 v[29:30], v[45:46], v[33:34]
	v_add_f64 v[25:26], v[19:20], -v[1:2]
	v_add_f64 v[27:28], v[39:40], -v[11:12]
	v_lshl_add_u32 v1, v13, 4, 0
	v_lshl_add_u32 v2, v9, 4, 0
                                        ; implicit-def: $vgpr12_vgpr13
	v_add_f64 v[33:34], v[49:50], -v[35:36]
	v_add_f64 v[35:36], v[51:52], -v[31:32]
	;; [unrolled: 1-line block ×3, first 2 shown]
	v_fma_f64 v[37:38], v[14:15], 2.0, -v[21:22]
	v_fma_f64 v[45:46], v[45:46], 2.0, -v[29:30]
                                        ; implicit-def: $vgpr14_vgpr15
	v_fma_f64 v[41:42], v[19:20], 2.0, -v[25:26]
	v_fma_f64 v[43:44], v[39:40], 2.0, -v[27:28]
	;; [unrolled: 1-line block ×3, first 2 shown]
	v_lshl_add_u32 v20, v10, 4, 0
	v_lshl_add_u32 v19, v7, 4, 0
	v_fma_f64 v[49:50], v[49:50], 2.0, -v[33:34]
	v_fma_f64 v[51:52], v[51:52], 2.0, -v[35:36]
	;; [unrolled: 1-line block ×3, first 2 shown]
	ds_store_b128 v17, v[41:44]
	ds_store_b128 v20, v[37:40]
	ds_store_b128 v1, v[25:28]
	ds_store_b128 v2, v[21:24]
	ds_store_b128 v18, v[49:52]
	ds_store_b128 v19, v[45:48]
	ds_store_b128 v4, v[33:36]
	ds_store_b128 v3, v[29:32]
	s_waitcnt lgkmcnt(0)
	s_barrier
	buffer_gl0_inv
	ds_load_b128 v[1:4], v17
	v_sub_nc_u32_e32 v21, 0, v16
	s_and_saveexec_b32 s1, s0
	s_delay_alu instid0(SALU_CYCLE_1)
	s_xor_b32 s0, exec_lo, s1
	s_cbranch_execz .LBB0_15
; %bb.14:
	global_load_b128 v[22:25], v16, s[2:3]
	ds_load_b128 v[11:14], v21 offset:16384
	s_waitcnt lgkmcnt(0)
	v_add_f64 v[26:27], v[1:2], -v[11:12]
	v_add_f64 v[28:29], v[3:4], v[13:14]
	v_add_f64 v[3:4], v[3:4], -v[13:14]
	v_add_f64 v[1:2], v[1:2], v[11:12]
	s_delay_alu instid0(VALU_DEP_4) | instskip(NEXT) | instid1(VALU_DEP_4)
	v_mul_f64 v[13:14], v[26:27], 0.5
	v_mul_f64 v[26:27], v[28:29], 0.5
	s_delay_alu instid0(VALU_DEP_4) | instskip(SKIP_1) | instid1(VALU_DEP_3)
	v_mul_f64 v[3:4], v[3:4], 0.5
	s_waitcnt vmcnt(0)
	v_mul_f64 v[11:12], v[13:14], v[24:25]
	s_delay_alu instid0(VALU_DEP_2) | instskip(SKIP_1) | instid1(VALU_DEP_3)
	v_fma_f64 v[28:29], v[26:27], v[24:25], v[3:4]
	v_fma_f64 v[3:4], v[26:27], v[24:25], -v[3:4]
	v_fma_f64 v[24:25], v[1:2], 0.5, v[11:12]
	v_fma_f64 v[1:2], v[1:2], 0.5, -v[11:12]
	s_delay_alu instid0(VALU_DEP_4) | instskip(NEXT) | instid1(VALU_DEP_4)
	v_fma_f64 v[28:29], -v[22:23], v[13:14], v[28:29]
	v_fma_f64 v[3:4], -v[22:23], v[13:14], v[3:4]
	ds_store_b64 v17, v[28:29] offset:8
	ds_store_b64 v21, v[3:4] offset:16392
	v_fma_f64 v[12:13], v[26:27], v[22:23], v[24:25]
	v_fma_f64 v[14:15], -v[26:27], v[22:23], v[1:2]
                                        ; implicit-def: $vgpr1_vgpr2
.LBB0_15:
	s_and_not1_saveexec_b32 s0, s0
	s_cbranch_execz .LBB0_17
; %bb.16:
	s_waitcnt lgkmcnt(0)
	v_add_f64 v[12:13], v[1:2], v[3:4]
	v_add_f64 v[14:15], v[1:2], -v[3:4]
	s_mov_b32 s4, 0
	v_mov_b32_e32 v3, 0
	s_mov_b32 s5, s4
	s_delay_alu instid0(SALU_CYCLE_1)
	v_dual_mov_b32 v1, s4 :: v_dual_mov_b32 v2, s5
	ds_store_b64 v17, v[1:2] offset:8
	ds_store_b64 v21, v[1:2] offset:16392
	ds_load_b64 v[1:2], v3 offset:8200
	s_waitcnt lgkmcnt(0)
	v_xor_b32_e32 v2, 0x80000000, v2
	ds_store_b64 v3, v[1:2] offset:8200
.LBB0_17:
	s_or_b32 exec_lo, exec_lo, s0
	v_mov_b32_e32 v9, 0
	s_waitcnt lgkmcnt(0)
	s_delay_alu instid0(VALU_DEP_1) | instskip(SKIP_2) | instid1(VALU_DEP_2)
	v_lshlrev_b64 v[1:2], 4, v[8:9]
	v_mov_b32_e32 v11, v9
	v_mov_b32_e32 v8, v9
	v_lshlrev_b64 v[10:11], 4, v[10:11]
	s_delay_alu instid0(VALU_DEP_4) | instskip(NEXT) | instid1(VALU_DEP_1)
	v_add_co_u32 v1, s0, s2, v1
	v_add_co_ci_u32_e64 v2, s0, s3, v2, s0
	s_delay_alu instid0(VALU_DEP_4) | instskip(NEXT) | instid1(VALU_DEP_4)
	v_lshlrev_b64 v[7:8], 4, v[7:8]
	v_add_co_u32 v10, s0, s2, v10
	global_load_b128 v[1:4], v[1:2], off
	v_add_co_ci_u32_e64 v11, s0, s3, v11, s0
	v_add_co_u32 v7, s0, s2, v7
	s_delay_alu instid0(VALU_DEP_1)
	v_add_co_ci_u32_e64 v8, s0, s3, v8, s0
	global_load_b128 v[22:25], v[10:11], off
	ds_store_b64 v17, v[12:13]
	ds_store_b64 v21, v[14:15] offset:16384
	ds_load_b128 v[10:13], v18
	ds_load_b128 v[26:29], v21 offset:14336
	s_waitcnt lgkmcnt(0)
	v_add_f64 v[14:15], v[10:11], -v[26:27]
	v_add_f64 v[30:31], v[12:13], v[28:29]
	v_add_f64 v[12:13], v[12:13], -v[28:29]
	v_add_f64 v[10:11], v[10:11], v[26:27]
	s_delay_alu instid0(VALU_DEP_4) | instskip(NEXT) | instid1(VALU_DEP_4)
	v_mul_f64 v[14:15], v[14:15], 0.5
	v_mul_f64 v[28:29], v[30:31], 0.5
	s_delay_alu instid0(VALU_DEP_4) | instskip(SKIP_1) | instid1(VALU_DEP_3)
	v_mul_f64 v[12:13], v[12:13], 0.5
	s_waitcnt vmcnt(1)
	v_mul_f64 v[26:27], v[14:15], v[3:4]
	s_delay_alu instid0(VALU_DEP_2) | instskip(SKIP_1) | instid1(VALU_DEP_3)
	v_fma_f64 v[30:31], v[28:29], v[3:4], v[12:13]
	v_fma_f64 v[3:4], v[28:29], v[3:4], -v[12:13]
	v_fma_f64 v[12:13], v[10:11], 0.5, v[26:27]
	v_fma_f64 v[10:11], v[10:11], 0.5, -v[26:27]
	s_delay_alu instid0(VALU_DEP_4) | instskip(NEXT) | instid1(VALU_DEP_4)
	v_fma_f64 v[26:27], -v[1:2], v[14:15], v[30:31]
	v_fma_f64 v[3:4], -v[1:2], v[14:15], v[3:4]
	s_delay_alu instid0(VALU_DEP_4) | instskip(NEXT) | instid1(VALU_DEP_4)
	v_fma_f64 v[12:13], v[28:29], v[1:2], v[12:13]
	v_fma_f64 v[1:2], -v[28:29], v[1:2], v[10:11]
	global_load_b128 v[7:10], v[7:8], off
	ds_store_2addr_b64 v18, v[12:13], v[26:27] offset1:1
	ds_store_b128 v21, v[1:4] offset:14336
	ds_load_b128 v[1:4], v20
	ds_load_b128 v[11:14], v21 offset:12288
	s_waitcnt lgkmcnt(0)
	v_add_f64 v[26:27], v[1:2], -v[11:12]
	v_add_f64 v[28:29], v[3:4], v[13:14]
	v_add_f64 v[3:4], v[3:4], -v[13:14]
	v_add_f64 v[1:2], v[1:2], v[11:12]
	s_delay_alu instid0(VALU_DEP_4) | instskip(NEXT) | instid1(VALU_DEP_4)
	v_mul_f64 v[13:14], v[26:27], 0.5
	v_mul_f64 v[26:27], v[28:29], 0.5
	s_delay_alu instid0(VALU_DEP_4) | instskip(SKIP_1) | instid1(VALU_DEP_3)
	v_mul_f64 v[3:4], v[3:4], 0.5
	s_waitcnt vmcnt(1)
	v_mul_f64 v[11:12], v[13:14], v[24:25]
	s_delay_alu instid0(VALU_DEP_2) | instskip(SKIP_1) | instid1(VALU_DEP_3)
	v_fma_f64 v[28:29], v[26:27], v[24:25], v[3:4]
	v_fma_f64 v[3:4], v[26:27], v[24:25], -v[3:4]
	v_fma_f64 v[24:25], v[1:2], 0.5, v[11:12]
	v_fma_f64 v[1:2], v[1:2], 0.5, -v[11:12]
	s_delay_alu instid0(VALU_DEP_4) | instskip(NEXT) | instid1(VALU_DEP_4)
	v_fma_f64 v[11:12], -v[22:23], v[13:14], v[28:29]
	v_fma_f64 v[3:4], -v[22:23], v[13:14], v[3:4]
	s_delay_alu instid0(VALU_DEP_4) | instskip(NEXT) | instid1(VALU_DEP_4)
	v_fma_f64 v[13:14], v[26:27], v[22:23], v[24:25]
	v_fma_f64 v[1:2], -v[26:27], v[22:23], v[1:2]
	ds_store_2addr_b64 v20, v[13:14], v[11:12] offset1:1
	ds_store_b128 v21, v[1:4] offset:12288
	ds_load_b128 v[1:4], v19
	ds_load_b128 v[11:14], v21 offset:10240
	s_waitcnt lgkmcnt(0)
	v_add_f64 v[22:23], v[1:2], -v[11:12]
	v_add_f64 v[24:25], v[3:4], v[13:14]
	v_add_f64 v[3:4], v[3:4], -v[13:14]
	v_add_f64 v[1:2], v[1:2], v[11:12]
	s_delay_alu instid0(VALU_DEP_4) | instskip(NEXT) | instid1(VALU_DEP_4)
	v_mul_f64 v[13:14], v[22:23], 0.5
	v_mul_f64 v[22:23], v[24:25], 0.5
	s_delay_alu instid0(VALU_DEP_4) | instskip(SKIP_1) | instid1(VALU_DEP_3)
	v_mul_f64 v[3:4], v[3:4], 0.5
	s_waitcnt vmcnt(0)
	v_mul_f64 v[11:12], v[13:14], v[9:10]
	s_delay_alu instid0(VALU_DEP_2) | instskip(SKIP_1) | instid1(VALU_DEP_3)
	v_fma_f64 v[24:25], v[22:23], v[9:10], v[3:4]
	v_fma_f64 v[3:4], v[22:23], v[9:10], -v[3:4]
	v_fma_f64 v[9:10], v[1:2], 0.5, v[11:12]
	v_fma_f64 v[1:2], v[1:2], 0.5, -v[11:12]
	s_delay_alu instid0(VALU_DEP_4) | instskip(NEXT) | instid1(VALU_DEP_4)
	v_fma_f64 v[11:12], -v[7:8], v[13:14], v[24:25]
	v_fma_f64 v[3:4], -v[7:8], v[13:14], v[3:4]
	s_delay_alu instid0(VALU_DEP_4) | instskip(NEXT) | instid1(VALU_DEP_4)
	v_fma_f64 v[9:10], v[22:23], v[7:8], v[9:10]
	v_fma_f64 v[1:2], -v[22:23], v[7:8], v[1:2]
	ds_store_2addr_b64 v19, v[9:10], v[11:12] offset1:1
	ds_store_b128 v21, v[1:4] offset:10240
	s_waitcnt lgkmcnt(0)
	s_barrier
	buffer_gl0_inv
	s_and_saveexec_b32 s0, vcc_lo
	s_cbranch_execz .LBB0_20
; %bb.18:
	ds_load_b128 v[7:10], v17
	ds_load_b128 v[11:14], v17 offset:2048
	ds_load_b128 v[18:21], v17 offset:4096
	;; [unrolled: 1-line block ×3, first 2 shown]
	v_add_co_u32 v1, vcc_lo, s8, v5
	v_add_co_ci_u32_e32 v2, vcc_lo, s9, v6, vcc_lo
	v_or_b32_e32 v5, 0x1000, v16
	s_delay_alu instid0(VALU_DEP_3) | instskip(SKIP_1) | instid1(VALU_DEP_4)
	v_add_co_u32 v3, vcc_lo, v1, v16
	v_or_b32_e32 v15, 0x1800, v16
	v_add_co_ci_u32_e32 v4, vcc_lo, 0, v2, vcc_lo
	s_delay_alu instid0(VALU_DEP_4)
	v_add_co_u32 v5, vcc_lo, v1, v5
	v_add_co_ci_u32_e32 v6, vcc_lo, 0, v2, vcc_lo
	v_lshl_or_b32 v28, v0, 4, 0x3800
	v_add_co_u32 v26, vcc_lo, v1, v15
	v_add_co_ci_u32_e32 v27, vcc_lo, 0, v2, vcc_lo
	s_waitcnt lgkmcnt(3)
	global_store_b128 v[3:4], v[7:10], off
	s_waitcnt lgkmcnt(2)
	global_store_b128 v[3:4], v[11:14], off offset:2048
	s_waitcnt lgkmcnt(1)
	global_store_b128 v[5:6], v[18:21], off
	s_waitcnt lgkmcnt(0)
	global_store_b128 v[26:27], v[22:25], off
	v_add_nc_u32_e32 v18, 0, v28
	v_or_b32_e32 v15, 0x2000, v16
	ds_load_b128 v[3:6], v17 offset:8192
	ds_load_b128 v[7:10], v17 offset:10240
	;; [unrolled: 1-line block ×3, first 2 shown]
	ds_load_b128 v[17:20], v18
	v_or_b32_e32 v23, 0x2800, v16
	v_add_co_u32 v21, vcc_lo, v1, v15
	v_or_b32_e32 v24, 0x3000, v16
	v_add_co_ci_u32_e32 v22, vcc_lo, 0, v2, vcc_lo
	s_delay_alu instid0(VALU_DEP_4) | instskip(SKIP_1) | instid1(VALU_DEP_4)
	v_add_co_u32 v15, vcc_lo, v1, v23
	v_add_co_ci_u32_e32 v16, vcc_lo, 0, v2, vcc_lo
	v_add_co_u32 v23, vcc_lo, v1, v24
	v_add_co_ci_u32_e32 v24, vcc_lo, 0, v2, vcc_lo
	;; [unrolled: 2-line block ×3, first 2 shown]
	v_cmp_eq_u32_e32 vcc_lo, 0x7f, v0
	s_waitcnt lgkmcnt(3)
	global_store_b128 v[21:22], v[3:6], off
	s_waitcnt lgkmcnt(2)
	global_store_b128 v[15:16], v[7:10], off
	;; [unrolled: 2-line block ×4, first 2 shown]
	s_and_b32 exec_lo, exec_lo, vcc_lo
	s_cbranch_execz .LBB0_20
; %bb.19:
	v_mov_b32_e32 v0, 0
	ds_load_b128 v[3:6], v0 offset:16384
	v_add_co_u32 v0, vcc_lo, 0x4000, v1
	v_add_co_ci_u32_e32 v1, vcc_lo, 0, v2, vcc_lo
	s_waitcnt lgkmcnt(0)
	global_store_b128 v[0:1], v[3:6], off
.LBB0_20:
	s_nop 0
	s_sendmsg sendmsg(MSG_DEALLOC_VGPRS)
	s_endpgm
	.section	.rodata,"a",@progbits
	.p2align	6, 0x0
	.amdhsa_kernel fft_rtc_back_len1024_factors_8_8_4_4_wgs_128_tpt_128_halfLds_dp_ip_CI_unitstride_sbrr_R2C_dirReg
		.amdhsa_group_segment_fixed_size 0
		.amdhsa_private_segment_fixed_size 0
		.amdhsa_kernarg_size 88
		.amdhsa_user_sgpr_count 15
		.amdhsa_user_sgpr_dispatch_ptr 0
		.amdhsa_user_sgpr_queue_ptr 0
		.amdhsa_user_sgpr_kernarg_segment_ptr 1
		.amdhsa_user_sgpr_dispatch_id 0
		.amdhsa_user_sgpr_private_segment_size 0
		.amdhsa_wavefront_size32 1
		.amdhsa_uses_dynamic_stack 0
		.amdhsa_enable_private_segment 0
		.amdhsa_system_sgpr_workgroup_id_x 1
		.amdhsa_system_sgpr_workgroup_id_y 0
		.amdhsa_system_sgpr_workgroup_id_z 0
		.amdhsa_system_sgpr_workgroup_info 0
		.amdhsa_system_vgpr_workitem_id 0
		.amdhsa_next_free_vgpr 80
		.amdhsa_next_free_sgpr 21
		.amdhsa_reserve_vcc 1
		.amdhsa_float_round_mode_32 0
		.amdhsa_float_round_mode_16_64 0
		.amdhsa_float_denorm_mode_32 3
		.amdhsa_float_denorm_mode_16_64 3
		.amdhsa_dx10_clamp 1
		.amdhsa_ieee_mode 1
		.amdhsa_fp16_overflow 0
		.amdhsa_workgroup_processor_mode 1
		.amdhsa_memory_ordered 1
		.amdhsa_forward_progress 0
		.amdhsa_shared_vgpr_count 0
		.amdhsa_exception_fp_ieee_invalid_op 0
		.amdhsa_exception_fp_denorm_src 0
		.amdhsa_exception_fp_ieee_div_zero 0
		.amdhsa_exception_fp_ieee_overflow 0
		.amdhsa_exception_fp_ieee_underflow 0
		.amdhsa_exception_fp_ieee_inexact 0
		.amdhsa_exception_int_div_zero 0
	.end_amdhsa_kernel
	.text
.Lfunc_end0:
	.size	fft_rtc_back_len1024_factors_8_8_4_4_wgs_128_tpt_128_halfLds_dp_ip_CI_unitstride_sbrr_R2C_dirReg, .Lfunc_end0-fft_rtc_back_len1024_factors_8_8_4_4_wgs_128_tpt_128_halfLds_dp_ip_CI_unitstride_sbrr_R2C_dirReg
                                        ; -- End function
	.section	.AMDGPU.csdata,"",@progbits
; Kernel info:
; codeLenInByte = 6312
; NumSgprs: 23
; NumVgprs: 80
; ScratchSize: 0
; MemoryBound: 0
; FloatMode: 240
; IeeeMode: 1
; LDSByteSize: 0 bytes/workgroup (compile time only)
; SGPRBlocks: 2
; VGPRBlocks: 9
; NumSGPRsForWavesPerEU: 23
; NumVGPRsForWavesPerEU: 80
; Occupancy: 16
; WaveLimiterHint : 1
; COMPUTE_PGM_RSRC2:SCRATCH_EN: 0
; COMPUTE_PGM_RSRC2:USER_SGPR: 15
; COMPUTE_PGM_RSRC2:TRAP_HANDLER: 0
; COMPUTE_PGM_RSRC2:TGID_X_EN: 1
; COMPUTE_PGM_RSRC2:TGID_Y_EN: 0
; COMPUTE_PGM_RSRC2:TGID_Z_EN: 0
; COMPUTE_PGM_RSRC2:TIDIG_COMP_CNT: 0
	.text
	.p2alignl 7, 3214868480
	.fill 96, 4, 3214868480
	.type	__hip_cuid_bdefb36362b4de6c,@object ; @__hip_cuid_bdefb36362b4de6c
	.section	.bss,"aw",@nobits
	.globl	__hip_cuid_bdefb36362b4de6c
__hip_cuid_bdefb36362b4de6c:
	.byte	0                               ; 0x0
	.size	__hip_cuid_bdefb36362b4de6c, 1

	.ident	"AMD clang version 19.0.0git (https://github.com/RadeonOpenCompute/llvm-project roc-6.4.0 25133 c7fe45cf4b819c5991fe208aaa96edf142730f1d)"
	.section	".note.GNU-stack","",@progbits
	.addrsig
	.addrsig_sym __hip_cuid_bdefb36362b4de6c
	.amdgpu_metadata
---
amdhsa.kernels:
  - .args:
      - .actual_access:  read_only
        .address_space:  global
        .offset:         0
        .size:           8
        .value_kind:     global_buffer
      - .offset:         8
        .size:           8
        .value_kind:     by_value
      - .actual_access:  read_only
        .address_space:  global
        .offset:         16
        .size:           8
        .value_kind:     global_buffer
      - .actual_access:  read_only
        .address_space:  global
        .offset:         24
        .size:           8
        .value_kind:     global_buffer
      - .offset:         32
        .size:           8
        .value_kind:     by_value
      - .actual_access:  read_only
        .address_space:  global
        .offset:         40
        .size:           8
        .value_kind:     global_buffer
      - .actual_access:  read_only
        .address_space:  global
        .offset:         48
        .size:           8
        .value_kind:     global_buffer
      - .offset:         56
        .size:           4
        .value_kind:     by_value
      - .actual_access:  read_only
        .address_space:  global
        .offset:         64
        .size:           8
        .value_kind:     global_buffer
      - .actual_access:  read_only
        .address_space:  global
        .offset:         72
        .size:           8
        .value_kind:     global_buffer
      - .address_space:  global
        .offset:         80
        .size:           8
        .value_kind:     global_buffer
    .group_segment_fixed_size: 0
    .kernarg_segment_align: 8
    .kernarg_segment_size: 88
    .language:       OpenCL C
    .language_version:
      - 2
      - 0
    .max_flat_workgroup_size: 128
    .name:           fft_rtc_back_len1024_factors_8_8_4_4_wgs_128_tpt_128_halfLds_dp_ip_CI_unitstride_sbrr_R2C_dirReg
    .private_segment_fixed_size: 0
    .sgpr_count:     23
    .sgpr_spill_count: 0
    .symbol:         fft_rtc_back_len1024_factors_8_8_4_4_wgs_128_tpt_128_halfLds_dp_ip_CI_unitstride_sbrr_R2C_dirReg.kd
    .uniform_work_group_size: 1
    .uses_dynamic_stack: false
    .vgpr_count:     80
    .vgpr_spill_count: 0
    .wavefront_size: 32
    .workgroup_processor_mode: 1
amdhsa.target:   amdgcn-amd-amdhsa--gfx1100
amdhsa.version:
  - 1
  - 2
...

	.end_amdgpu_metadata
